;; amdgpu-corpus repo=ROCm/rocFFT kind=compiled arch=gfx1030 opt=O3
	.text
	.amdgcn_target "amdgcn-amd-amdhsa--gfx1030"
	.amdhsa_code_object_version 6
	.protected	fft_rtc_back_len1560_factors_13_2_2_10_3_wgs_156_tpt_156_dp_op_CI_CI_unitstride_sbrr_dirReg ; -- Begin function fft_rtc_back_len1560_factors_13_2_2_10_3_wgs_156_tpt_156_dp_op_CI_CI_unitstride_sbrr_dirReg
	.globl	fft_rtc_back_len1560_factors_13_2_2_10_3_wgs_156_tpt_156_dp_op_CI_CI_unitstride_sbrr_dirReg
	.p2align	8
	.type	fft_rtc_back_len1560_factors_13_2_2_10_3_wgs_156_tpt_156_dp_op_CI_CI_unitstride_sbrr_dirReg,@function
fft_rtc_back_len1560_factors_13_2_2_10_3_wgs_156_tpt_156_dp_op_CI_CI_unitstride_sbrr_dirReg: ; @fft_rtc_back_len1560_factors_13_2_2_10_3_wgs_156_tpt_156_dp_op_CI_CI_unitstride_sbrr_dirReg
; %bb.0:
	s_clause 0x2
	s_load_dwordx4 s[8:11], s[4:5], 0x0
	s_load_dwordx4 s[12:15], s[4:5], 0x58
	;; [unrolled: 1-line block ×3, first 2 shown]
	v_mul_u32_u24_e32 v1, 0x1a5, v0
	v_mov_b32_e32 v3, 0
	v_add_nc_u32_sdwa v5, s6, v1 dst_sel:DWORD dst_unused:UNUSED_PAD src0_sel:DWORD src1_sel:WORD_1
	v_mov_b32_e32 v1, 0
	v_mov_b32_e32 v6, v3
	v_mov_b32_e32 v2, 0
	s_waitcnt lgkmcnt(0)
	v_cmp_lt_u64_e64 s0, s[10:11], 2
	s_and_b32 vcc_lo, exec_lo, s0
	s_cbranch_vccnz .LBB0_8
; %bb.1:
	s_load_dwordx2 s[0:1], s[4:5], 0x10
	v_mov_b32_e32 v1, 0
	v_mov_b32_e32 v2, 0
	s_add_u32 s2, s18, 8
	s_addc_u32 s3, s19, 0
	s_add_u32 s6, s16, 8
	s_addc_u32 s7, s17, 0
	v_mov_b32_e32 v61, v2
	v_mov_b32_e32 v60, v1
	s_mov_b64 s[22:23], 1
	s_waitcnt lgkmcnt(0)
	s_add_u32 s20, s0, 8
	s_addc_u32 s21, s1, 0
.LBB0_2:                                ; =>This Inner Loop Header: Depth=1
	s_load_dwordx2 s[24:25], s[20:21], 0x0
                                        ; implicit-def: $vgpr64_vgpr65
	s_mov_b32 s0, exec_lo
	s_waitcnt lgkmcnt(0)
	v_or_b32_e32 v4, s25, v6
	v_cmpx_ne_u64_e32 0, v[3:4]
	s_xor_b32 s1, exec_lo, s0
	s_cbranch_execz .LBB0_4
; %bb.3:                                ;   in Loop: Header=BB0_2 Depth=1
	v_cvt_f32_u32_e32 v4, s24
	v_cvt_f32_u32_e32 v7, s25
	s_sub_u32 s0, 0, s24
	s_subb_u32 s26, 0, s25
	v_fmac_f32_e32 v4, 0x4f800000, v7
	v_rcp_f32_e32 v4, v4
	v_mul_f32_e32 v4, 0x5f7ffffc, v4
	v_mul_f32_e32 v7, 0x2f800000, v4
	v_trunc_f32_e32 v7, v7
	v_fmac_f32_e32 v4, 0xcf800000, v7
	v_cvt_u32_f32_e32 v7, v7
	v_cvt_u32_f32_e32 v4, v4
	v_mul_lo_u32 v8, s0, v7
	v_mul_hi_u32 v9, s0, v4
	v_mul_lo_u32 v10, s26, v4
	v_add_nc_u32_e32 v8, v9, v8
	v_mul_lo_u32 v9, s0, v4
	v_add_nc_u32_e32 v8, v8, v10
	v_mul_hi_u32 v10, v4, v9
	v_mul_lo_u32 v11, v4, v8
	v_mul_hi_u32 v12, v4, v8
	v_mul_hi_u32 v13, v7, v9
	v_mul_lo_u32 v9, v7, v9
	v_mul_hi_u32 v14, v7, v8
	v_mul_lo_u32 v8, v7, v8
	v_add_co_u32 v10, vcc_lo, v10, v11
	v_add_co_ci_u32_e32 v11, vcc_lo, 0, v12, vcc_lo
	v_add_co_u32 v9, vcc_lo, v10, v9
	v_add_co_ci_u32_e32 v9, vcc_lo, v11, v13, vcc_lo
	v_add_co_ci_u32_e32 v10, vcc_lo, 0, v14, vcc_lo
	v_add_co_u32 v8, vcc_lo, v9, v8
	v_add_co_ci_u32_e32 v9, vcc_lo, 0, v10, vcc_lo
	v_add_co_u32 v4, vcc_lo, v4, v8
	v_add_co_ci_u32_e32 v7, vcc_lo, v7, v9, vcc_lo
	v_mul_hi_u32 v8, s0, v4
	v_mul_lo_u32 v10, s26, v4
	v_mul_lo_u32 v9, s0, v7
	v_add_nc_u32_e32 v8, v8, v9
	v_mul_lo_u32 v9, s0, v4
	v_add_nc_u32_e32 v8, v8, v10
	v_mul_hi_u32 v10, v4, v9
	v_mul_lo_u32 v11, v4, v8
	v_mul_hi_u32 v12, v4, v8
	v_mul_hi_u32 v13, v7, v9
	v_mul_lo_u32 v9, v7, v9
	v_mul_hi_u32 v14, v7, v8
	v_mul_lo_u32 v8, v7, v8
	v_add_co_u32 v10, vcc_lo, v10, v11
	v_add_co_ci_u32_e32 v11, vcc_lo, 0, v12, vcc_lo
	v_add_co_u32 v9, vcc_lo, v10, v9
	v_add_co_ci_u32_e32 v9, vcc_lo, v11, v13, vcc_lo
	v_add_co_ci_u32_e32 v10, vcc_lo, 0, v14, vcc_lo
	v_add_co_u32 v8, vcc_lo, v9, v8
	v_add_co_ci_u32_e32 v9, vcc_lo, 0, v10, vcc_lo
	v_add_co_u32 v4, vcc_lo, v4, v8
	v_add_co_ci_u32_e32 v11, vcc_lo, v7, v9, vcc_lo
	v_mul_hi_u32 v13, v5, v4
	v_mad_u64_u32 v[9:10], null, v6, v4, 0
	v_mad_u64_u32 v[7:8], null, v5, v11, 0
	;; [unrolled: 1-line block ×3, first 2 shown]
	v_add_co_u32 v4, vcc_lo, v13, v7
	v_add_co_ci_u32_e32 v7, vcc_lo, 0, v8, vcc_lo
	v_add_co_u32 v4, vcc_lo, v4, v9
	v_add_co_ci_u32_e32 v4, vcc_lo, v7, v10, vcc_lo
	v_add_co_ci_u32_e32 v7, vcc_lo, 0, v12, vcc_lo
	v_add_co_u32 v4, vcc_lo, v4, v11
	v_add_co_ci_u32_e32 v9, vcc_lo, 0, v7, vcc_lo
	v_mul_lo_u32 v10, s25, v4
	v_mad_u64_u32 v[7:8], null, s24, v4, 0
	v_mul_lo_u32 v11, s24, v9
	v_sub_co_u32 v7, vcc_lo, v5, v7
	v_add3_u32 v8, v8, v11, v10
	v_sub_nc_u32_e32 v10, v6, v8
	v_subrev_co_ci_u32_e64 v10, s0, s25, v10, vcc_lo
	v_add_co_u32 v11, s0, v4, 2
	v_add_co_ci_u32_e64 v12, s0, 0, v9, s0
	v_sub_co_u32 v13, s0, v7, s24
	v_sub_co_ci_u32_e32 v8, vcc_lo, v6, v8, vcc_lo
	v_subrev_co_ci_u32_e64 v10, s0, 0, v10, s0
	v_cmp_le_u32_e32 vcc_lo, s24, v13
	v_cmp_eq_u32_e64 s0, s25, v8
	v_cndmask_b32_e64 v13, 0, -1, vcc_lo
	v_cmp_le_u32_e32 vcc_lo, s25, v10
	v_cndmask_b32_e64 v14, 0, -1, vcc_lo
	v_cmp_le_u32_e32 vcc_lo, s24, v7
	;; [unrolled: 2-line block ×3, first 2 shown]
	v_cndmask_b32_e64 v15, 0, -1, vcc_lo
	v_cmp_eq_u32_e32 vcc_lo, s25, v10
	v_cndmask_b32_e64 v7, v15, v7, s0
	v_cndmask_b32_e32 v10, v14, v13, vcc_lo
	v_add_co_u32 v13, vcc_lo, v4, 1
	v_add_co_ci_u32_e32 v14, vcc_lo, 0, v9, vcc_lo
	v_cmp_ne_u32_e32 vcc_lo, 0, v10
	v_cndmask_b32_e32 v8, v14, v12, vcc_lo
	v_cndmask_b32_e32 v10, v13, v11, vcc_lo
	v_cmp_ne_u32_e32 vcc_lo, 0, v7
	v_cndmask_b32_e32 v65, v9, v8, vcc_lo
	v_cndmask_b32_e32 v64, v4, v10, vcc_lo
.LBB0_4:                                ;   in Loop: Header=BB0_2 Depth=1
	s_andn2_saveexec_b32 s0, s1
	s_cbranch_execz .LBB0_6
; %bb.5:                                ;   in Loop: Header=BB0_2 Depth=1
	v_cvt_f32_u32_e32 v4, s24
	s_sub_i32 s1, 0, s24
	v_mov_b32_e32 v65, v3
	v_rcp_iflag_f32_e32 v4, v4
	v_mul_f32_e32 v4, 0x4f7ffffe, v4
	v_cvt_u32_f32_e32 v4, v4
	v_mul_lo_u32 v7, s1, v4
	v_mul_hi_u32 v7, v4, v7
	v_add_nc_u32_e32 v4, v4, v7
	v_mul_hi_u32 v4, v5, v4
	v_mul_lo_u32 v7, v4, s24
	v_add_nc_u32_e32 v8, 1, v4
	v_sub_nc_u32_e32 v7, v5, v7
	v_subrev_nc_u32_e32 v9, s24, v7
	v_cmp_le_u32_e32 vcc_lo, s24, v7
	v_cndmask_b32_e32 v7, v7, v9, vcc_lo
	v_cndmask_b32_e32 v4, v4, v8, vcc_lo
	v_cmp_le_u32_e32 vcc_lo, s24, v7
	v_add_nc_u32_e32 v8, 1, v4
	v_cndmask_b32_e32 v64, v4, v8, vcc_lo
.LBB0_6:                                ;   in Loop: Header=BB0_2 Depth=1
	s_or_b32 exec_lo, exec_lo, s0
	v_mul_lo_u32 v4, v65, s24
	v_mul_lo_u32 v9, v64, s25
	s_load_dwordx2 s[0:1], s[6:7], 0x0
	v_mad_u64_u32 v[7:8], null, v64, s24, 0
	s_load_dwordx2 s[24:25], s[2:3], 0x0
	s_add_u32 s22, s22, 1
	s_addc_u32 s23, s23, 0
	s_add_u32 s2, s2, 8
	s_addc_u32 s3, s3, 0
	s_add_u32 s6, s6, 8
	v_add3_u32 v4, v8, v9, v4
	v_sub_co_u32 v5, vcc_lo, v5, v7
	s_addc_u32 s7, s7, 0
	s_add_u32 s20, s20, 8
	v_sub_co_ci_u32_e32 v4, vcc_lo, v6, v4, vcc_lo
	s_addc_u32 s21, s21, 0
	s_waitcnt lgkmcnt(0)
	v_mul_lo_u32 v6, s0, v4
	v_mul_lo_u32 v7, s1, v5
	v_mad_u64_u32 v[1:2], null, s0, v5, v[1:2]
	v_mul_lo_u32 v4, s24, v4
	v_mul_lo_u32 v8, s25, v5
	v_mad_u64_u32 v[60:61], null, s24, v5, v[60:61]
	v_cmp_ge_u64_e64 s0, s[22:23], s[10:11]
	v_add3_u32 v2, v7, v2, v6
	v_add3_u32 v61, v8, v61, v4
	s_and_b32 vcc_lo, exec_lo, s0
	s_cbranch_vccnz .LBB0_9
; %bb.7:                                ;   in Loop: Header=BB0_2 Depth=1
	v_mov_b32_e32 v5, v64
	v_mov_b32_e32 v6, v65
	s_branch .LBB0_2
.LBB0_8:
	v_mov_b32_e32 v61, v2
	v_mov_b32_e32 v65, v6
	;; [unrolled: 1-line block ×4, first 2 shown]
.LBB0_9:
	s_load_dwordx2 s[0:1], s[4:5], 0x28
	v_mul_hi_u32 v3, 0x1a41a42, v0
	s_lshl_b64 s[4:5], s[10:11], 3
                                        ; implicit-def: $vgpr10_vgpr11
                                        ; implicit-def: $vgpr14_vgpr15
                                        ; implicit-def: $vgpr18_vgpr19
                                        ; implicit-def: $vgpr22_vgpr23
                                        ; implicit-def: $vgpr30_vgpr31
                                        ; implicit-def: $vgpr34_vgpr35
                                        ; implicit-def: $vgpr38_vgpr39
                                        ; implicit-def: $vgpr46_vgpr47
                                        ; implicit-def: $vgpr50_vgpr51
                                        ; implicit-def: $vgpr54_vgpr55
                                        ; implicit-def: $vgpr58_vgpr59
                                        ; implicit-def: $vgpr42_vgpr43
                                        ; implicit-def: $vgpr26_vgpr27
	s_add_u32 s2, s18, s4
	s_addc_u32 s3, s19, s5
	v_mul_u32_u24_e32 v3, 0x9c, v3
	v_sub_nc_u32_e32 v62, v0, v3
	s_waitcnt lgkmcnt(0)
	v_cmp_gt_u64_e32 vcc_lo, s[0:1], v[64:65]
	v_cmp_gt_u32_e64 s0, 0x78, v62
	s_and_b32 s1, vcc_lo, s0
	s_and_saveexec_b32 s6, s1
	s_cbranch_execz .LBB0_11
; %bb.10:
	s_add_u32 s4, s16, s4
	s_addc_u32 s5, s17, s5
	v_mov_b32_e32 v63, 0
	s_load_dwordx2 s[4:5], s[4:5], 0x0
	s_waitcnt lgkmcnt(0)
	v_mul_lo_u32 v0, s5, v64
	v_mul_lo_u32 v5, s4, v65
	v_mad_u64_u32 v[3:4], null, s4, v64, 0
	v_add3_u32 v4, v4, v5, v0
	v_lshlrev_b64 v[0:1], 4, v[1:2]
	v_lshlrev_b64 v[3:4], 4, v[3:4]
	v_add_co_u32 v5, s1, s12, v3
	v_add_co_ci_u32_e64 v4, s1, s13, v4, s1
	v_lshlrev_b64 v[2:3], 4, v[62:63]
	v_add_co_u32 v0, s1, v5, v0
	v_add_co_ci_u32_e64 v1, s1, v4, v1, s1
	v_add_co_u32 v0, s1, v0, v2
	v_add_co_ci_u32_e64 v1, s1, v1, v3, s1
	s_clause 0x1
	global_load_dwordx4 v[24:27], v[0:1], off
	global_load_dwordx4 v[40:43], v[0:1], off offset:1920
	v_add_co_u32 v2, s1, 0x800, v0
	v_add_co_ci_u32_e64 v3, s1, 0, v1, s1
	v_add_co_u32 v4, s1, 0x1000, v0
	v_add_co_ci_u32_e64 v5, s1, 0, v1, s1
	;; [unrolled: 2-line block ×7, first 2 shown]
	s_clause 0x5
	global_load_dwordx4 v[56:59], v[2:3], off offset:1792
	global_load_dwordx4 v[52:55], v[4:5], off offset:1664
	;; [unrolled: 1-line block ×6, first 2 shown]
	v_add_co_u32 v2, s1, 0x4000, v0
	v_add_co_ci_u32_e64 v3, s1, 0, v1, s1
	v_add_co_u32 v4, s1, 0x4800, v0
	v_add_co_ci_u32_e64 v5, s1, 0, v1, s1
	;; [unrolled: 2-line block ×4, first 2 shown]
	s_clause 0x4
	global_load_dwordx4 v[28:31], v[14:15], off offset:1024
	global_load_dwordx4 v[20:23], v[2:3], off offset:896
	;; [unrolled: 1-line block ×5, first 2 shown]
.LBB0_11:
	s_or_b32 exec_lo, exec_lo, s6
	s_waitcnt vmcnt(0)
	v_add_f64 v[142:143], v[42:43], -v[10:11]
	v_add_f64 v[150:151], v[40:41], -v[8:9]
	s_mov_b32 s4, 0x42a4c3d2
	s_mov_b32 s6, 0x66966769
	;; [unrolled: 1-line block ×4, first 2 shown]
	v_add_f64 v[156:157], v[8:9], v[40:41]
	v_add_f64 v[66:67], v[58:59], -v[14:15]
	v_add_f64 v[148:149], v[10:11], v[42:43]
	v_add_f64 v[68:69], v[56:57], -v[12:13]
	s_mov_b32 s10, 0x1ea71119
	s_mov_b32 s18, 0x2ef20147
	;; [unrolled: 1-line block ×8, first 2 shown]
	v_add_f64 v[134:135], v[12:13], v[56:57]
	v_add_f64 v[106:107], v[14:15], v[58:59]
	v_add_f64 v[76:77], v[54:55], -v[18:19]
	v_add_f64 v[122:123], v[52:53], -v[16:17]
	v_mul_f64 v[152:153], v[142:143], s[4:5]
	v_mul_f64 v[154:155], v[150:151], s[4:5]
	;; [unrolled: 1-line block ×4, first 2 shown]
	s_mov_b32 s20, 0xb2365da1
	s_mov_b32 s16, 0x93053d00
	;; [unrolled: 1-line block ×3, first 2 shown]
	v_mul_f64 v[124:125], v[66:67], s[18:19]
	v_mul_f64 v[136:137], v[66:67], s[12:13]
	;; [unrolled: 1-line block ×4, first 2 shown]
	s_mov_b32 s17, 0xbfef11f4
	s_mov_b32 s25, 0x3fedeba7
	;; [unrolled: 1-line block ×3, first 2 shown]
	v_add_f64 v[126:127], v[16:17], v[52:53]
	v_add_f64 v[84:85], v[18:19], v[54:55]
	v_add_f64 v[70:71], v[50:51], -v[22:23]
	v_add_f64 v[96:97], v[48:49], -v[20:21]
	s_mov_b32 s22, 0x24c2f84
	s_mov_b32 s30, 0x4267c47c
	v_mul_f64 v[120:121], v[76:77], s[12:13]
	v_mul_f64 v[128:129], v[122:123], s[12:13]
	v_fma_f64 v[0:1], v[156:157], s[10:11], -v[152:153]
	v_fma_f64 v[2:3], v[148:149], s[10:11], v[154:155]
	v_fma_f64 v[4:5], v[156:157], s[28:29], -v[158:159]
	v_fma_f64 v[6:7], v[148:149], s[28:29], v[160:161]
	v_mul_f64 v[132:133], v[76:77], s[24:25]
	v_mul_f64 v[144:145], v[122:123], s[24:25]
	s_mov_b32 s23, 0x3fe5384d
	v_fma_f64 v[74:75], v[134:135], s[20:21], -v[124:125]
	v_fma_f64 v[82:83], v[134:135], s[16:17], -v[136:137]
	v_fma_f64 v[80:81], v[106:107], s[20:21], v[130:131]
	v_fma_f64 v[90:91], v[106:107], s[16:17], v[146:147]
	s_mov_b32 s31, 0x3fddbe06
	v_add_f64 v[118:119], v[20:21], v[48:49]
	v_add_f64 v[78:79], v[22:23], v[50:51]
	v_add_f64 v[72:73], v[46:47], -v[30:31]
	v_add_f64 v[86:87], v[44:45], -v[28:29]
	v_mul_f64 v[88:89], v[70:71], s[22:23]
	v_mul_f64 v[104:105], v[96:97], s[22:23]
	;; [unrolled: 1-line block ×4, first 2 shown]
	v_fma_f64 v[92:93], v[126:127], s[16:17], -v[120:121]
	v_fma_f64 v[98:99], v[84:85], s[16:17], v[128:129]
	v_add_f64 v[0:1], v[24:25], v[0:1]
	v_add_f64 v[2:3], v[26:27], v[2:3]
	;; [unrolled: 1-line block ×4, first 2 shown]
	v_fma_f64 v[102:103], v[126:127], s[20:21], -v[132:133]
	v_fma_f64 v[112:113], v[84:85], s[20:21], v[144:145]
	s_mov_b32 s26, 0xd0032e0c
	s_mov_b32 s38, 0xe00740e9
	;; [unrolled: 1-line block ×6, first 2 shown]
	v_add_f64 v[110:111], v[28:29], v[44:45]
	s_mov_b32 s35, 0xbfe5384d
	v_mul_f64 v[94:95], v[72:73], s[36:37]
	v_mul_f64 v[100:101], v[86:87], s[36:37]
	;; [unrolled: 1-line block ×4, first 2 shown]
	v_fma_f64 v[162:163], v[118:119], s[26:27], -v[88:89]
	v_fma_f64 v[164:165], v[78:79], s[26:27], v[104:105]
	v_fma_f64 v[166:167], v[118:119], s[38:39], -v[138:139]
	v_fma_f64 v[168:169], v[78:79], s[38:39], v[140:141]
	v_add_f64 v[0:1], v[74:75], v[0:1]
	v_add_f64 v[2:3], v[80:81], v[2:3]
	;; [unrolled: 1-line block ×5, first 2 shown]
	v_add_f64 v[74:75], v[38:39], -v[34:35]
	v_add_f64 v[90:91], v[36:37], -v[32:33]
	s_mov_b32 s34, s22
	v_add_f64 v[82:83], v[34:35], v[38:39]
	v_fma_f64 v[170:171], v[110:111], s[28:29], -v[94:95]
	v_fma_f64 v[174:175], v[110:111], s[10:11], -v[108:109]
	v_add_f64 v[0:1], v[92:93], v[0:1]
	v_add_f64 v[2:3], v[98:99], v[2:3]
	;; [unrolled: 1-line block ×5, first 2 shown]
	v_mul_f64 v[92:93], v[74:75], s[30:31]
	v_mul_f64 v[98:99], v[90:91], s[30:31]
	;; [unrolled: 1-line block ×4, first 2 shown]
	v_fma_f64 v[172:173], v[80:81], s[28:29], v[100:101]
	v_fma_f64 v[176:177], v[80:81], s[10:11], v[116:117]
	v_add_f64 v[0:1], v[162:163], v[0:1]
	v_add_f64 v[2:3], v[164:165], v[2:3]
	;; [unrolled: 1-line block ×4, first 2 shown]
	v_fma_f64 v[162:163], v[112:113], s[38:39], -v[92:93]
	v_fma_f64 v[164:165], v[82:83], s[38:39], v[98:99]
	v_fma_f64 v[166:167], v[112:113], s[26:27], -v[102:103]
	v_fma_f64 v[168:169], v[82:83], s[26:27], v[114:115]
	v_add_f64 v[0:1], v[170:171], v[0:1]
	v_add_f64 v[2:3], v[172:173], v[2:3]
	;; [unrolled: 1-line block ×8, first 2 shown]
	s_and_saveexec_b32 s33, s0
	s_cbranch_execz .LBB0_13
; %bb.12:
	v_add_f64 v[42:43], v[42:43], v[26:27]
	v_add_f64 v[40:41], v[40:41], v[24:25]
	s_mov_b32 s43, 0xbfddbe06
	s_mov_b32 s42, s30
	v_mul_f64 v[164:165], v[68:69], s[30:31]
	v_mul_f64 v[170:171], v[150:151], s[34:35]
	;; [unrolled: 1-line block ×5, first 2 shown]
	s_mov_b32 s1, 0x3fcea1e5
	s_mov_b32 s0, s12
	v_mul_f64 v[168:169], v[134:135], s[38:39]
	v_mul_f64 v[162:163], v[122:123], s[34:35]
	;; [unrolled: 1-line block ×4, first 2 shown]
	s_mov_b32 s41, 0x3fea55e2
	s_mov_b32 s40, s4
	v_mul_f64 v[180:181], v[134:135], s[26:27]
	v_mul_f64 v[182:183], v[122:123], s[4:5]
	;; [unrolled: 1-line block ×3, first 2 shown]
	v_add_f64 v[42:43], v[58:59], v[42:43]
	v_add_f64 v[40:41], v[56:57], v[40:41]
	v_mul_f64 v[56:57], v[156:157], s[28:29]
	v_mul_f64 v[58:59], v[148:149], s[28:29]
	v_fma_f64 v[190:191], v[106:107], s[38:39], v[164:165]
	v_fma_f64 v[164:165], v[106:107], s[38:39], -v[164:165]
	v_add_f64 v[42:43], v[54:55], v[42:43]
	v_add_f64 v[40:41], v[52:53], v[40:41]
	v_mul_f64 v[52:53], v[156:157], s[10:11]
	v_mul_f64 v[54:55], v[148:149], s[10:11]
	v_add_f64 v[58:59], v[58:59], -v[160:161]
	v_fma_f64 v[160:161], v[148:149], s[26:27], v[170:171]
	v_add_f64 v[56:57], v[158:159], v[56:57]
	v_fma_f64 v[158:159], v[142:143], s[22:23], v[172:173]
	v_fma_f64 v[170:171], v[148:149], s[26:27], -v[170:171]
	v_fma_f64 v[172:173], v[142:143], s[34:35], v[172:173]
	v_add_f64 v[42:43], v[50:51], v[42:43]
	v_add_f64 v[40:41], v[48:49], v[40:41]
	v_mul_f64 v[48:49], v[150:151], s[12:13]
	v_mul_f64 v[50:51], v[156:157], s[16:17]
	;; [unrolled: 1-line block ×4, first 2 shown]
	v_add_f64 v[54:55], v[54:55], -v[154:155]
	v_add_f64 v[52:53], v[152:153], v[52:53]
	v_fma_f64 v[154:155], v[66:67], s[42:43], v[168:169]
	v_add_f64 v[160:161], v[26:27], v[160:161]
	v_add_f64 v[158:159], v[24:25], v[158:159]
	;; [unrolled: 1-line block ×8, first 2 shown]
	v_fma_f64 v[186:187], v[148:149], s[16:17], v[48:49]
	v_fma_f64 v[48:49], v[148:149], s[16:17], -v[48:49]
	v_fma_f64 v[188:189], v[142:143], s[0:1], v[50:51]
	v_fma_f64 v[50:51], v[142:143], s[12:13], v[50:51]
	v_mul_f64 v[44:45], v[68:69], s[36:37]
	v_mul_f64 v[46:47], v[134:135], s[28:29]
	v_fma_f64 v[152:153], v[142:143], s[30:31], v[156:157]
	v_add_f64 v[54:55], v[26:27], v[54:55]
	v_add_f64 v[52:53], v[24:25], v[52:53]
	v_mul_f64 v[68:69], v[68:69], s[4:5]
	v_add_f64 v[38:39], v[38:39], v[42:43]
	v_add_f64 v[36:37], v[36:37], v[40:41]
	v_fma_f64 v[40:41], v[148:149], s[20:21], v[174:175]
	v_fma_f64 v[42:43], v[142:143], s[24:25], v[176:177]
	v_fma_f64 v[174:175], v[148:149], s[20:21], -v[174:175]
	v_fma_f64 v[176:177], v[142:143], s[18:19], v[176:177]
	v_fma_f64 v[142:143], v[142:143], s[42:43], v[156:157]
	;; [unrolled: 1-line block ×3, first 2 shown]
	v_fma_f64 v[148:149], v[148:149], s[38:39], -v[150:151]
	v_add_f64 v[186:187], v[26:27], v[186:187]
	v_add_f64 v[48:49], v[26:27], v[48:49]
	v_fma_f64 v[150:151], v[66:67], s[30:31], v[168:169]
	v_add_f64 v[188:189], v[24:25], v[188:189]
	v_add_f64 v[50:51], v[24:25], v[50:51]
	v_fma_f64 v[168:169], v[106:107], s[28:29], v[44:45]
	v_add_f64 v[152:153], v[24:25], v[152:153]
	v_fma_f64 v[44:45], v[106:107], s[28:29], -v[44:45]
	v_add_f64 v[34:35], v[34:35], v[38:39]
	v_add_f64 v[32:33], v[32:33], v[36:37]
	;; [unrolled: 1-line block ×9, first 2 shown]
	v_fma_f64 v[24:25], v[66:67], s[6:7], v[46:47]
	v_mul_f64 v[148:149], v[96:97], s[40:41]
	v_fma_f64 v[46:47], v[66:67], s[36:37], v[46:47]
	v_add_f64 v[186:187], v[190:191], v[186:187]
	v_fma_f64 v[190:191], v[84:85], s[26:27], v[162:163]
	v_add_f64 v[48:49], v[164:165], v[48:49]
	v_fma_f64 v[162:163], v[84:85], s[26:27], -v[162:163]
	v_add_f64 v[154:155], v[154:155], v[188:189]
	v_fma_f64 v[188:189], v[76:77], s[22:23], v[166:167]
	v_mul_f64 v[164:165], v[118:119], s[10:11]
	v_add_f64 v[50:51], v[150:151], v[50:51]
	v_fma_f64 v[150:151], v[106:107], s[26:27], v[178:179]
	v_mul_f64 v[36:37], v[86:87], s[18:19]
	v_add_f64 v[160:161], v[168:169], v[160:161]
	v_mul_f64 v[168:169], v[96:97], s[0:1]
	v_fma_f64 v[166:167], v[76:77], s[34:35], v[166:167]
	v_add_f64 v[44:45], v[44:45], v[170:171]
	v_fma_f64 v[170:171], v[84:85], s[10:11], v[182:183]
	v_fma_f64 v[182:183], v[84:85], s[10:11], -v[182:183]
	v_fma_f64 v[178:179], v[106:107], s[26:27], -v[178:179]
	v_mul_f64 v[38:39], v[110:111], s[20:21]
	v_add_f64 v[30:31], v[30:31], v[34:35]
	v_add_f64 v[24:25], v[24:25], v[158:159]
	v_fma_f64 v[158:159], v[66:67], s[34:35], v[180:181]
	v_add_f64 v[46:47], v[46:47], v[172:173]
	v_fma_f64 v[172:173], v[76:77], s[40:41], v[184:185]
	;; [unrolled: 2-line block ×3, first 2 shown]
	v_add_f64 v[48:49], v[162:163], v[48:49]
	v_fma_f64 v[148:149], v[78:79], s[10:11], -v[148:149]
	v_add_f64 v[154:155], v[188:189], v[154:155]
	v_fma_f64 v[188:189], v[70:71], s[4:5], v[164:165]
	v_mul_f64 v[162:163], v[118:119], s[16:17]
	v_fma_f64 v[184:185], v[76:77], s[4:5], v[184:185]
	v_add_f64 v[40:41], v[150:151], v[40:41]
	v_mul_f64 v[150:151], v[122:123], s[30:31]
	v_fma_f64 v[164:165], v[70:71], s[40:41], v[164:165]
	v_add_f64 v[50:51], v[166:167], v[50:51]
	v_add_f64 v[28:29], v[28:29], v[32:33]
	;; [unrolled: 1-line block ×3, first 2 shown]
	v_mul_f64 v[170:171], v[86:87], s[30:31]
	v_add_f64 v[44:45], v[182:183], v[44:45]
	v_mul_f64 v[182:183], v[106:107], s[16:17]
	v_add_f64 v[174:175], v[178:179], v[174:175]
	v_mul_f64 v[166:167], v[126:127], s[38:39]
	v_add_f64 v[42:43], v[158:159], v[42:43]
	v_fma_f64 v[158:159], v[78:79], s[16:17], v[168:169]
	v_add_f64 v[24:25], v[172:173], v[24:25]
	v_fma_f64 v[172:173], v[80:81], s[20:21], v[36:37]
	v_fma_f64 v[36:37], v[80:81], s[20:21], -v[36:37]
	v_fma_f64 v[168:169], v[78:79], s[16:17], -v[168:169]
	v_add_f64 v[48:49], v[148:149], v[48:49]
	v_add_f64 v[186:187], v[190:191], v[186:187]
	;; [unrolled: 1-line block ×3, first 2 shown]
	v_fma_f64 v[188:189], v[70:71], s[12:13], v[162:163]
	v_mul_f64 v[148:149], v[110:111], s[38:39]
	v_add_f64 v[46:47], v[184:185], v[46:47]
	v_mul_f64 v[184:185], v[96:97], s[6:7]
	v_fma_f64 v[178:179], v[84:85], s[38:39], v[150:151]
	v_fma_f64 v[150:151], v[84:85], s[38:39], -v[150:151]
	v_fma_f64 v[190:191], v[72:73], s[24:25], v[38:39]
	v_add_f64 v[50:51], v[164:165], v[50:51]
	v_fma_f64 v[38:39], v[72:73], s[18:19], v[38:39]
	v_fma_f64 v[34:35], v[80:81], s[38:39], v[170:171]
	v_add_f64 v[146:147], v[182:183], -v[146:147]
	v_fma_f64 v[170:171], v[80:81], s[38:39], -v[170:171]
	v_fma_f64 v[162:163], v[70:71], s[0:1], v[162:163]
	v_mul_f64 v[164:165], v[118:119], s[28:29]
	v_add_f64 v[158:159], v[158:159], v[160:161]
	v_fma_f64 v[160:161], v[76:77], s[42:43], v[166:167]
	v_mul_f64 v[122:123], v[122:123], s[6:7]
	v_fma_f64 v[180:181], v[66:67], s[22:23], v[180:181]
	v_add_f64 v[44:45], v[168:169], v[44:45]
	v_add_f64 v[36:37], v[36:37], v[48:49]
	v_mul_f64 v[48:49], v[84:85], s[20:21]
	v_add_f64 v[32:33], v[172:173], v[186:187]
	v_add_f64 v[24:25], v[188:189], v[24:25]
	v_fma_f64 v[172:173], v[72:73], s[42:43], v[148:149]
	v_mul_f64 v[168:169], v[134:135], s[20:21]
	v_fma_f64 v[182:183], v[78:79], s[28:29], -v[184:185]
	v_fma_f64 v[148:149], v[72:73], s[30:31], v[148:149]
	v_add_f64 v[150:151], v[150:151], v[174:175]
	v_mul_f64 v[174:175], v[90:91], s[36:37]
	v_add_f64 v[40:41], v[178:179], v[40:41]
	v_add_f64 v[38:39], v[38:39], v[50:51]
	v_mul_f64 v[50:51], v[134:135], s[16:17]
	v_add_f64 v[58:59], v[146:147], v[58:59]
	v_mul_f64 v[146:147], v[118:119], s[38:39]
	v_mul_f64 v[134:135], v[134:135], s[10:11]
	v_add_f64 v[46:47], v[162:163], v[46:47]
	v_mul_f64 v[162:163], v[106:107], s[20:21]
	v_add_f64 v[158:159], v[34:35], v[158:159]
	v_mul_f64 v[34:35], v[126:127], s[16:17]
	v_fma_f64 v[178:179], v[78:79], s[28:29], v[184:185]
	v_add_f64 v[44:45], v[170:171], v[44:45]
	v_mul_f64 v[170:171], v[126:127], s[20:21]
	v_add_f64 v[48:49], v[48:49], -v[144:145]
	v_mul_f64 v[126:127], v[126:127], s[28:29]
	v_mul_f64 v[144:145], v[84:85], s[16:17]
	v_add_f64 v[172:173], v[172:173], v[24:25]
	v_mul_f64 v[24:25], v[78:79], s[38:39]
	v_add_f64 v[124:125], v[124:125], v[168:169]
	v_add_f64 v[42:43], v[160:161], v[42:43]
	;; [unrolled: 1-line block ×3, first 2 shown]
	v_fma_f64 v[182:183], v[82:83], s[28:29], v[174:175]
	v_fma_f64 v[160:161], v[70:71], s[36:37], v[164:165]
	v_mul_f64 v[96:97], v[96:97], s[18:19]
	v_add_f64 v[50:51], v[136:137], v[50:51]
	v_mul_f64 v[136:137], v[78:79], s[26:27]
	v_add_f64 v[176:177], v[180:181], v[176:177]
	v_fma_f64 v[166:167], v[76:77], s[30:31], v[166:167]
	v_add_f64 v[46:47], v[148:149], v[46:47]
	v_add_f64 v[130:131], v[162:163], -v[130:131]
	v_mul_f64 v[148:149], v[118:119], s[26:27]
	v_mul_f64 v[118:119], v[118:119], s[20:21]
	v_add_f64 v[34:35], v[120:121], v[34:35]
	v_add_f64 v[22:23], v[22:23], v[30:31]
	;; [unrolled: 1-line block ×5, first 2 shown]
	v_fma_f64 v[138:139], v[106:107], s[10:11], -v[68:69]
	v_fma_f64 v[170:171], v[66:67], s[4:5], v[134:135]
	v_fma_f64 v[68:69], v[106:107], s[10:11], v[68:69]
	v_add_f64 v[140:141], v[24:25], -v[140:141]
	v_add_f64 v[52:53], v[124:125], v[52:53]
	v_fma_f64 v[124:125], v[84:85], s[28:29], -v[122:123]
	v_add_f64 v[24:25], v[182:183], v[32:33]
	v_fma_f64 v[32:33], v[66:67], s[40:41], v[134:135]
	v_add_f64 v[128:129], v[144:145], -v[128:129]
	v_add_f64 v[50:51], v[50:51], v[56:57]
	v_fma_f64 v[84:85], v[84:85], s[28:29], v[122:123]
	v_add_f64 v[20:21], v[20:21], v[28:29]
	v_add_f64 v[40:41], v[178:179], v[40:41]
	v_mul_f64 v[178:179], v[110:111], s[28:29]
	v_add_f64 v[54:55], v[130:131], v[54:55]
	v_add_f64 v[42:43], v[160:161], v[42:43]
	v_mul_f64 v[160:161], v[80:81], s[28:29]
	v_mul_f64 v[162:163], v[110:111], s[10:11]
	;; [unrolled: 1-line block ×3, first 2 shown]
	v_add_f64 v[88:89], v[88:89], v[148:149]
	v_mul_f64 v[86:87], v[86:87], s[34:35]
	v_fma_f64 v[148:149], v[78:79], s[20:21], -v[96:97]
	v_add_f64 v[26:27], v[138:139], v[26:27]
	v_add_f64 v[142:143], v[170:171], v[142:143]
	;; [unrolled: 1-line block ×3, first 2 shown]
	v_fma_f64 v[156:157], v[76:77], s[6:7], v[126:127]
	v_fma_f64 v[76:77], v[76:77], s[36:37], v[126:127]
	v_mul_f64 v[138:139], v[110:111], s[16:17]
	v_mul_f64 v[110:111], v[110:111], s[26:27]
	v_add_f64 v[32:33], v[32:33], v[152:153]
	v_add_f64 v[104:105], v[136:137], -v[104:105]
	v_add_f64 v[30:31], v[34:35], v[52:53]
	v_mul_f64 v[180:181], v[80:81], s[10:11]
	v_add_f64 v[34:35], v[132:133], v[50:51]
	v_fma_f64 v[164:165], v[70:71], s[6:7], v[164:165]
	v_add_f64 v[50:51], v[166:167], v[176:177]
	v_add_f64 v[54:55], v[128:129], v[54:55]
	v_fma_f64 v[78:79], v[78:79], s[20:21], v[96:97]
	v_add_f64 v[18:19], v[18:19], v[22:23]
	v_add_f64 v[16:17], v[16:17], v[20:21]
	v_mul_f64 v[184:185], v[112:113], s[28:29]
	v_mul_f64 v[146:147], v[90:91], s[18:19]
	;; [unrolled: 1-line block ×4, first 2 shown]
	v_add_f64 v[26:27], v[124:125], v[26:27]
	v_fma_f64 v[124:125], v[70:71], s[18:19], v[118:119]
	v_add_f64 v[68:69], v[84:85], v[68:69]
	v_add_f64 v[28:29], v[156:157], v[142:143]
	v_fma_f64 v[70:71], v[70:71], s[24:25], v[118:119]
	v_add_f64 v[84:85], v[94:95], v[178:179]
	v_mul_f64 v[94:95], v[112:113], s[16:17]
	v_add_f64 v[32:33], v[76:77], v[32:33]
	v_add_f64 v[76:77], v[160:161], -v[100:101]
	v_fma_f64 v[96:97], v[80:81], s[26:27], -v[86:87]
	v_fma_f64 v[100:101], v[72:73], s[34:35], v[110:111]
	v_mul_f64 v[168:169], v[112:113], s[38:39]
	v_mul_f64 v[56:57], v[82:83], s[38:39]
	v_fma_f64 v[152:153], v[80:81], s[16:17], v[66:67]
	v_fma_f64 v[66:67], v[80:81], s[16:17], -v[66:67]
	v_add_f64 v[54:55], v[104:105], v[54:55]
	v_add_f64 v[22:23], v[88:89], v[30:31]
	v_mul_f64 v[144:145], v[112:113], s[26:27]
	v_mul_f64 v[130:131], v[82:83], s[26:27]
	v_add_f64 v[116:117], v[180:181], -v[116:117]
	v_add_f64 v[48:49], v[140:141], v[48:49]
	v_add_f64 v[108:109], v[108:109], v[162:163]
	v_add_f64 v[26:27], v[148:149], v[26:27]
	v_mul_f64 v[136:137], v[112:113], s[10:11]
	v_fma_f64 v[52:53], v[72:73], s[0:1], v[138:139]
	v_add_f64 v[20:21], v[124:125], v[28:29]
	v_add_f64 v[28:29], v[58:59], v[34:35]
	;; [unrolled: 1-line block ×3, first 2 shown]
	v_mul_f64 v[106:107], v[112:113], s[20:21]
	v_fma_f64 v[128:129], v[72:73], s[12:13], v[138:139]
	v_fma_f64 v[80:81], v[80:81], s[26:27], v[86:87]
	v_add_f64 v[68:69], v[78:79], v[68:69]
	v_fma_f64 v[72:73], v[72:73], s[22:23], v[110:111]
	v_add_f64 v[32:33], v[70:71], v[32:33]
	v_add_f64 v[88:89], v[14:15], v[18:19]
	;; [unrolled: 1-line block ×3, first 2 shown]
	v_fma_f64 v[134:135], v[82:83], s[28:29], -v[174:175]
	v_fma_f64 v[174:175], v[74:75], s[36:37], v[184:185]
	v_fma_f64 v[78:79], v[82:83], s[16:17], -v[90:91]
	v_fma_f64 v[86:87], v[74:75], s[12:13], v[94:95]
	v_fma_f64 v[34:35], v[82:83], s[10:11], -v[126:127]
	v_add_f64 v[50:51], v[66:67], v[150:151]
	v_add_f64 v[56:57], v[56:57], -v[98:99]
	v_add_f64 v[54:55], v[76:77], v[54:55]
	v_add_f64 v[26:27], v[96:97], v[26:27]
	;; [unrolled: 1-line block ×5, first 2 shown]
	v_add_f64 v[66:67], v[130:131], -v[114:115]
	v_add_f64 v[48:49], v[116:117], v[48:49]
	v_add_f64 v[70:71], v[102:103], v[144:145]
	;; [unrolled: 1-line block ×3, first 2 shown]
	v_fma_f64 v[58:59], v[74:75], s[40:41], v[136:137]
	v_add_f64 v[52:53], v[52:53], v[30:31]
	v_fma_f64 v[170:171], v[82:83], s[20:21], v[146:147]
	v_fma_f64 v[122:123], v[74:75], s[24:25], v[106:107]
	v_fma_f64 v[146:147], v[82:83], s[20:21], -v[146:147]
	v_fma_f64 v[106:107], v[74:75], s[18:19], v[106:107]
	v_add_f64 v[154:155], v[190:191], v[154:155]
	v_fma_f64 v[120:121], v[74:75], s[6:7], v[184:185]
	v_fma_f64 v[96:97], v[82:83], s[10:11], v[126:127]
	v_add_f64 v[98:99], v[152:153], v[40:41]
	v_fma_f64 v[100:101], v[74:75], s[4:5], v[136:137]
	v_add_f64 v[102:103], v[128:129], v[42:43]
	;; [unrolled: 2-line block ×4, first 2 shown]
	v_add_f64 v[10:11], v[10:11], v[88:89]
	v_add_f64 v[8:9], v[8:9], v[16:17]
	;; [unrolled: 1-line block ×20, first 2 shown]
	v_mad_u32_u24 v20, 0xd0, v62, 0
	v_add_f64 v[50:51], v[74:75], v[72:73]
	ds_write_b128 v20, v[8:11]
	ds_write_b128 v20, v[38:41] offset:16
	ds_write_b128 v20, v[34:37] offset:32
	;; [unrolled: 1-line block ×12, first 2 shown]
.LBB0_13:
	s_or_b32 exec_lo, exec_lo, s33
	v_and_b32_e32 v8, 0xff, v62
	v_add_nc_u32_e32 v52, 0x9c, v62
	v_mov_b32_e32 v9, 0x4ec5
	v_add_nc_u32_e32 v51, 0x138, v62
	v_add_nc_u32_e32 v50, 0x1d4, v62
	v_mul_lo_u16 v8, 0x4f, v8
	v_add_nc_u32_e32 v49, 0x270, v62
	v_mul_u32_u24_sdwa v47, v52, v9 dst_sel:DWORD dst_unused:UNUSED_PAD src0_sel:WORD_0 src1_sel:DWORD
	v_mul_u32_u24_sdwa v59, v51, v9 dst_sel:DWORD dst_unused:UNUSED_PAD src0_sel:WORD_0 src1_sel:DWORD
	;; [unrolled: 1-line block ×3, first 2 shown]
	v_lshrrev_b16 v11, 10, v8
	v_mul_u32_u24_sdwa v95, v49, v9 dst_sel:DWORD dst_unused:UNUSED_PAD src0_sel:WORD_0 src1_sel:DWORD
	v_lshrrev_b32_e32 v94, 18, v47
	v_lshrrev_b32_e32 v96, 18, v59
	;; [unrolled: 1-line block ×3, first 2 shown]
	v_mul_lo_u16 v10, v11, 13
	v_lshrrev_b32_e32 v98, 18, v95
	v_mov_b32_e32 v12, 4
	v_mul_lo_u16 v13, v96, 13
	v_mul_lo_u16 v14, v97, 13
	v_sub_nc_u16 v9, v62, v10
	v_mul_lo_u16 v10, v94, 13
	v_mul_lo_u16 v15, v98, 13
	v_sub_nc_u16 v13, v51, v13
	s_load_dwordx2 s[2:3], s[2:3], 0x0
	v_lshlrev_b32_sdwa v99, v12, v9 dst_sel:DWORD dst_unused:UNUSED_PAD src0_sel:DWORD src1_sel:BYTE_0
	v_sub_nc_u16 v10, v52, v10
	v_sub_nc_u16 v9, v50, v14
	s_waitcnt lgkmcnt(0)
	s_barrier
	buffer_gl0_inv
	v_lshlrev_b32_sdwa v100, v12, v10 dst_sel:DWORD dst_unused:UNUSED_PAD src0_sel:DWORD src1_sel:WORD_0
	v_sub_nc_u16 v10, v49, v15
	v_lshlrev_b32_sdwa v101, v12, v13 dst_sel:DWORD dst_unused:UNUSED_PAD src0_sel:DWORD src1_sel:WORD_0
	global_load_dwordx4 v[13:16], v99, s[8:9]
	v_lshlrev_b32_sdwa v102, v12, v9 dst_sel:DWORD dst_unused:UNUSED_PAD src0_sel:DWORD src1_sel:WORD_0
	global_load_dwordx4 v[17:20], v100, s[8:9]
	v_lshlrev_b32_sdwa v103, v12, v10 dst_sel:DWORD dst_unused:UNUSED_PAD src0_sel:DWORD src1_sel:WORD_0
	s_clause 0x2
	global_load_dwordx4 v[21:24], v101, s[8:9]
	global_load_dwordx4 v[25:28], v102, s[8:9]
	;; [unrolled: 1-line block ×3, first 2 shown]
	v_lshl_add_u32 v48, v62, 4, 0
	ds_read_b128 v[33:36], v48 offset:12480
	ds_read_b128 v[37:40], v48 offset:14976
	;; [unrolled: 1-line block ×6, first 2 shown]
	ds_read_b128 v[74:77], v48
	ds_read_b128 v[78:81], v48 offset:2496
	ds_read_b128 v[82:85], v48 offset:4992
	;; [unrolled: 1-line block ×3, first 2 shown]
	v_lshrrev_b16 v104, 11, v8
	v_lshrrev_b32_e32 v47, 19, v47
	v_lshrrev_b32_e32 v59, 19, v59
	;; [unrolled: 1-line block ×4, first 2 shown]
	s_waitcnt vmcnt(0) lgkmcnt(0)
	s_barrier
	buffer_gl0_inv
	s_mov_b32 s6, 0x134454ff
	s_mov_b32 s7, 0xbfee6f0e
	;; [unrolled: 1-line block ×16, first 2 shown]
	v_mul_f64 v[9:10], v[35:36], v[15:16]
	v_mul_f64 v[15:16], v[33:34], v[15:16]
	;; [unrolled: 1-line block ×10, first 2 shown]
	v_fma_f64 v[9:10], v[33:34], v[13:14], v[9:10]
	v_fma_f64 v[15:16], v[35:36], v[13:14], -v[15:16]
	v_fma_f64 v[33:34], v[37:38], v[17:18], v[45:46]
	v_fma_f64 v[19:20], v[39:40], v[17:18], -v[19:20]
	;; [unrolled: 2-line block ×5, first 2 shown]
	v_mov_b32_e32 v13, 0x1a0
	v_mul_lo_u16 v57, v63, 26
	v_mul_lo_u16 v58, v95, 26
	v_mul_u32_u24_e32 v45, 0x1a0, v97
	v_mul_u32_u24_e32 v46, 0x1a0, v98
	v_mul_u32_u24_sdwa v11, v11, v13 dst_sel:DWORD dst_unused:UNUSED_PAD src0_sel:WORD_0 src1_sel:DWORD
	v_sub_nc_u16 v57, v50, v57
	v_sub_nc_u16 v49, v49, v58
	v_add3_u32 v45, 0, v45, v102
	v_add3_u32 v46, 0, v46, v103
	;; [unrolled: 1-line block ×3, first 2 shown]
	v_lshlrev_b32_sdwa v98, v12, v57 dst_sel:DWORD dst_unused:UNUSED_PAD src0_sel:DWORD src1_sel:WORD_0
	v_add_f64 v[13:14], v[74:75], -v[9:10]
	v_add_f64 v[15:16], v[76:77], -v[15:16]
	v_add_f64 v[17:18], v[78:79], -v[33:34]
	v_add_f64 v[19:20], v[80:81], -v[19:20]
	v_add_f64 v[21:22], v[82:83], -v[35:36]
	v_add_f64 v[23:24], v[84:85], -v[23:24]
	v_add_f64 v[25:26], v[86:87], -v[37:38]
	v_add_f64 v[27:28], v[88:89], -v[27:28]
	v_add_f64 v[29:30], v[70:71], -v[39:40]
	v_add_f64 v[31:32], v[72:73], -v[31:32]
	v_mul_lo_u16 v33, v104, 26
	v_mul_lo_u16 v34, v47, 26
	;; [unrolled: 1-line block ×3, first 2 shown]
	v_mul_u32_u24_e32 v9, 0x1a0, v94
	v_mul_u32_u24_e32 v10, 0x1a0, v96
	v_sub_nc_u16 v90, v62, v33
	v_sub_nc_u16 v91, v52, v34
	;; [unrolled: 1-line block ×3, first 2 shown]
	v_add3_u32 v9, 0, v9, v100
	v_add3_u32 v10, 0, v10, v101
	v_lshlrev_b32_sdwa v94, v12, v90 dst_sel:DWORD dst_unused:UNUSED_PAD src0_sel:DWORD src1_sel:BYTE_0
	v_lshlrev_b32_sdwa v96, v12, v91 dst_sel:DWORD dst_unused:UNUSED_PAD src0_sel:DWORD src1_sel:WORD_0
	v_fma_f64 v[33:34], v[74:75], 2.0, -v[13:14]
	v_fma_f64 v[35:36], v[76:77], 2.0, -v[15:16]
	v_fma_f64 v[37:38], v[78:79], 2.0, -v[17:18]
	v_fma_f64 v[39:40], v[80:81], 2.0, -v[19:20]
	v_fma_f64 v[41:42], v[82:83], 2.0, -v[21:22]
	v_fma_f64 v[43:44], v[84:85], 2.0, -v[23:24]
	v_fma_f64 v[53:54], v[86:87], 2.0, -v[25:26]
	v_fma_f64 v[55:56], v[88:89], 2.0, -v[27:28]
	v_fma_f64 v[66:67], v[70:71], 2.0, -v[29:30]
	v_fma_f64 v[68:69], v[72:73], 2.0, -v[31:32]
	v_lshlrev_b32_sdwa v97, v12, v92 dst_sel:DWORD dst_unused:UNUSED_PAD src0_sel:DWORD src1_sel:WORD_0
	v_lshlrev_b32_sdwa v49, v12, v49 dst_sel:DWORD dst_unused:UNUSED_PAD src0_sel:DWORD src1_sel:WORD_0
	v_mul_u32_u24_e32 v47, 0x340, v47
	v_mul_u32_u24_e32 v59, 0x340, v59
	;; [unrolled: 1-line block ×3, first 2 shown]
	ds_write_b128 v11, v[13:16] offset:208
	ds_write_b128 v11, v[33:36]
	ds_write_b128 v9, v[37:40]
	ds_write_b128 v9, v[17:20] offset:208
	ds_write_b128 v10, v[41:44]
	ds_write_b128 v10, v[21:24] offset:208
	;; [unrolled: 2-line block ×4, first 2 shown]
	s_waitcnt lgkmcnt(0)
	s_barrier
	buffer_gl0_inv
	s_clause 0x4
	global_load_dwordx4 v[13:16], v94, s[8:9] offset:208
	global_load_dwordx4 v[17:20], v96, s[8:9] offset:208
	;; [unrolled: 1-line block ×5, first 2 shown]
	ds_read_b128 v[33:36], v48 offset:12480
	ds_read_b128 v[37:40], v48 offset:14976
	;; [unrolled: 1-line block ×6, first 2 shown]
	ds_read_b128 v[74:77], v48
	ds_read_b128 v[78:81], v48 offset:2496
	ds_read_b128 v[82:85], v48 offset:4992
	;; [unrolled: 1-line block ×3, first 2 shown]
	v_add3_u32 v47, 0, v47, v96
	v_add3_u32 v59, 0, v59, v97
	;; [unrolled: 1-line block ×3, first 2 shown]
	s_waitcnt vmcnt(0) lgkmcnt(0)
	s_barrier
	buffer_gl0_inv
	v_mul_f64 v[57:58], v[43:44], v[23:24]
	v_mul_f64 v[9:10], v[35:36], v[15:16]
	v_mul_f64 v[15:16], v[33:34], v[15:16]
	v_mul_f64 v[45:46], v[39:40], v[19:20]
	v_mul_f64 v[19:20], v[37:38], v[19:20]
	v_mul_f64 v[23:24], v[41:42], v[23:24]
	v_mul_f64 v[90:91], v[55:56], v[27:28]
	v_mul_f64 v[27:28], v[53:54], v[27:28]
	v_mul_f64 v[92:93], v[68:69], v[31:32]
	v_mul_f64 v[31:32], v[66:67], v[31:32]
	v_fma_f64 v[9:10], v[33:34], v[13:14], v[9:10]
	v_fma_f64 v[13:14], v[35:36], v[13:14], -v[15:16]
	v_fma_f64 v[33:34], v[37:38], v[17:18], v[45:46]
	v_fma_f64 v[35:36], v[39:40], v[17:18], -v[19:20]
	;; [unrolled: 2-line block ×5, first 2 shown]
	v_mov_b32_e32 v57, 9
	v_mul_u32_u24_e32 v66, 0x340, v95
	v_add3_u32 v49, 0, v66, v49
	v_add_f64 v[15:16], v[74:75], -v[9:10]
	v_add_f64 v[17:18], v[76:77], -v[13:14]
	;; [unrolled: 1-line block ×10, first 2 shown]
	v_lshrrev_b16 v13, 12, v8
	v_mov_b32_e32 v8, 0x340
	v_mul_lo_u16 v9, v13, 52
	v_mul_u32_u24_sdwa v58, v104, v8 dst_sel:DWORD dst_unused:UNUSED_PAD src0_sel:WORD_0 src1_sel:DWORD
	v_sub_nc_u16 v14, v62, v9
	v_add3_u32 v58, 0, v58, v94
	v_fma_f64 v[8:9], v[74:75], 2.0, -v[15:16]
	v_fma_f64 v[10:11], v[76:77], 2.0, -v[17:18]
	v_fma_f64 v[35:36], v[78:79], 2.0, -v[19:20]
	v_fma_f64 v[37:38], v[80:81], 2.0, -v[21:22]
	v_fma_f64 v[39:40], v[82:83], 2.0, -v[23:24]
	v_fma_f64 v[41:42], v[84:85], 2.0, -v[25:26]
	v_fma_f64 v[43:44], v[86:87], 2.0, -v[27:28]
	v_fma_f64 v[45:46], v[88:89], 2.0, -v[29:30]
	v_fma_f64 v[53:54], v[70:71], 2.0, -v[31:32]
	v_fma_f64 v[55:56], v[72:73], 2.0, -v[33:34]
	v_mul_u32_u24_sdwa v57, v14, v57 dst_sel:DWORD dst_unused:UNUSED_PAD src0_sel:BYTE_0 src1_sel:DWORD
	v_lshlrev_b32_sdwa v12, v12, v14 dst_sel:DWORD dst_unused:UNUSED_PAD src0_sel:DWORD src1_sel:BYTE_0
	ds_write_b128 v58, v[15:18] offset:416
	ds_write_b128 v58, v[8:11]
	ds_write_b128 v47, v[35:38]
	ds_write_b128 v47, v[19:22] offset:416
	ds_write_b128 v59, v[39:42]
	ds_write_b128 v59, v[23:26] offset:416
	;; [unrolled: 2-line block ×4, first 2 shown]
	v_lshlrev_b32_e32 v57, 4, v57
	s_waitcnt lgkmcnt(0)
	s_barrier
	buffer_gl0_inv
	s_clause 0x8
	global_load_dwordx4 v[8:11], v57, s[8:9] offset:656
	global_load_dwordx4 v[15:18], v57, s[8:9] offset:688
	;; [unrolled: 1-line block ×9, first 2 shown]
	ds_read_b128 v[53:56], v48 offset:7488
	ds_read_b128 v[66:69], v48 offset:12480
	;; [unrolled: 1-line block ×9, first 2 shown]
	ds_read_b128 v[98:101], v48
	v_mov_b32_e32 v47, 0x2080
	s_waitcnt vmcnt(0) lgkmcnt(0)
	s_barrier
	buffer_gl0_inv
	v_mul_u32_u24_sdwa v13, v13, v47 dst_sel:DWORD dst_unused:UNUSED_PAD src0_sel:WORD_0 src1_sel:DWORD
	v_add3_u32 v12, 0, v13, v12
	v_mul_f64 v[57:58], v[53:54], v[10:11]
	v_mul_f64 v[102:103], v[66:67], v[17:18]
	;; [unrolled: 1-line block ×18, first 2 shown]
	v_fma_f64 v[55:56], v[55:56], v[8:9], -v[57:58]
	v_fma_f64 v[57:58], v[68:69], v[15:16], -v[102:103]
	;; [unrolled: 1-line block ×4, first 2 shown]
	v_fma_f64 v[8:9], v[53:54], v[8:9], v[10:11]
	v_fma_f64 v[15:16], v[66:67], v[15:16], v[17:18]
	;; [unrolled: 1-line block ×4, first 2 shown]
	v_fma_f64 v[23:24], v[80:81], v[27:28], -v[108:109]
	v_fma_f64 v[76:77], v[82:83], v[31:32], v[110:111]
	v_fma_f64 v[31:32], v[84:85], v[31:32], -v[33:34]
	v_fma_f64 v[10:11], v[86:87], v[35:36], v[112:113]
	;; [unrolled: 2-line block ×3, first 2 shown]
	v_fma_f64 v[39:40], v[92:93], v[39:40], -v[41:42]
	v_fma_f64 v[37:38], v[96:97], v[43:44], -v[116:117]
	v_fma_f64 v[17:18], v[94:95], v[43:44], v[45:46]
	v_fma_f64 v[27:28], v[78:79], v[27:28], v[29:30]
	v_add_f64 v[108:109], v[55:56], -v[57:58]
	v_add_f64 v[25:26], v[57:58], v[68:69]
	v_add_f64 v[41:42], v[55:56], v[72:73]
	v_add_f64 v[106:107], v[55:56], -v[72:73]
	v_add_f64 v[110:111], v[72:73], -v[68:69]
	;; [unrolled: 1-line block ×3, first 2 shown]
	v_add_f64 v[74:75], v[15:16], v[19:20]
	v_add_f64 v[78:79], v[8:9], v[21:22]
	v_add_f64 v[80:81], v[8:9], -v[21:22]
	v_add_f64 v[82:83], v[15:16], -v[19:20]
	v_add_f64 v[29:30], v[98:99], v[76:77]
	v_add_f64 v[66:67], v[76:77], -v[10:11]
	v_add_f64 v[112:113], v[57:58], -v[55:56]
	v_add_f64 v[43:44], v[10:11], v[35:36]
	v_add_f64 v[92:93], v[33:34], v[39:40]
	;; [unrolled: 1-line block ×3, first 2 shown]
	v_add_f64 v[70:71], v[17:18], -v[35:36]
	v_add_f64 v[84:85], v[76:77], v[17:18]
	v_add_f64 v[114:115], v[68:69], -v[72:73]
	v_add_f64 v[90:91], v[100:101], v[31:32]
	v_add_f64 v[45:46], v[31:32], -v[37:38]
	v_add_f64 v[53:54], v[33:34], -v[39:40]
	;; [unrolled: 1-line block ×3, first 2 shown]
	v_fma_f64 v[25:26], v[25:26], -0.5, v[23:24]
	v_fma_f64 v[41:42], v[41:42], -0.5, v[23:24]
	v_add_f64 v[23:24], v[23:24], v[55:56]
	v_add_f64 v[88:89], v[35:36], -v[17:18]
	v_add_f64 v[76:77], v[76:77], -v[17:18]
	v_fma_f64 v[74:75], v[74:75], -0.5, v[27:28]
	v_fma_f64 v[78:79], v[78:79], -0.5, v[27:28]
	v_add_f64 v[27:28], v[27:28], v[8:9]
	v_add_f64 v[94:95], v[10:11], -v[35:36]
	v_add_f64 v[124:125], v[8:9], -v[15:16]
	;; [unrolled: 1-line block ×3, first 2 shown]
	v_add_f64 v[10:11], v[29:30], v[10:11]
	v_fma_f64 v[43:44], v[43:44], -0.5, v[98:99]
	v_add_f64 v[8:9], v[15:16], -v[8:9]
	v_add_f64 v[128:129], v[19:20], -v[21:22]
	v_add_f64 v[55:56], v[66:67], v[70:71]
	v_fma_f64 v[29:30], v[84:85], -0.5, v[98:99]
	v_fma_f64 v[66:67], v[92:93], -0.5, v[100:101]
	v_fma_f64 v[70:71], v[104:105], -0.5, v[100:101]
	v_add_f64 v[84:85], v[108:109], v[110:111]
	v_add_f64 v[92:93], v[112:113], v[114:115]
	v_add_f64 v[96:97], v[31:32], -v[33:34]
	v_fma_f64 v[120:121], v[80:81], s[4:5], v[25:26]
	v_fma_f64 v[122:123], v[82:83], s[6:7], v[41:42]
	;; [unrolled: 1-line block ×4, first 2 shown]
	v_add_f64 v[31:32], v[33:34], -v[31:32]
	v_fma_f64 v[98:99], v[106:107], s[6:7], v[74:75]
	v_fma_f64 v[100:101], v[116:117], s[4:5], v[78:79]
	v_fma_f64 v[74:75], v[106:107], s[4:5], v[74:75]
	v_fma_f64 v[78:79], v[116:117], s[6:7], v[78:79]
	v_add_f64 v[33:34], v[90:91], v[33:34]
	v_add_f64 v[15:16], v[27:28], v[15:16]
	;; [unrolled: 1-line block ×3, first 2 shown]
	v_add_f64 v[102:103], v[37:38], -v[39:40]
	v_add_f64 v[27:28], v[124:125], v[126:127]
	v_fma_f64 v[57:58], v[45:46], s[6:7], v[43:44]
	v_fma_f64 v[43:44], v[45:46], s[4:5], v[43:44]
	v_add_f64 v[118:119], v[39:40], -v[37:38]
	v_add_f64 v[8:9], v[8:9], v[128:129]
	v_add_f64 v[10:11], v[10:11], v[35:36]
	v_fma_f64 v[104:105], v[82:83], s[12:13], v[120:121]
	v_fma_f64 v[108:109], v[80:81], s[12:13], v[122:123]
	;; [unrolled: 1-line block ×4, first 2 shown]
	v_add_f64 v[80:81], v[86:87], v[88:89]
	v_fma_f64 v[82:83], v[53:54], s[4:5], v[29:30]
	v_fma_f64 v[29:30], v[53:54], s[6:7], v[29:30]
	;; [unrolled: 1-line block ×10, first 2 shown]
	v_add_f64 v[33:34], v[33:34], v[39:40]
	v_add_f64 v[15:16], v[15:16], v[19:20]
	;; [unrolled: 1-line block ×3, first 2 shown]
	v_fma_f64 v[23:24], v[53:54], s[10:11], v[57:58]
	v_fma_f64 v[35:36], v[53:54], s[12:13], v[43:44]
	v_add_f64 v[31:32], v[31:32], v[118:119]
	v_add_f64 v[10:11], v[10:11], v[17:18]
	v_fma_f64 v[100:101], v[84:85], s[0:1], v[104:105]
	v_fma_f64 v[104:105], v[92:93], s[0:1], v[108:109]
	;; [unrolled: 1-line block ×4, first 2 shown]
	v_add_f64 v[84:85], v[96:97], v[102:103]
	v_fma_f64 v[39:40], v[45:46], s[10:11], v[82:83]
	v_fma_f64 v[29:30], v[45:46], s[12:13], v[29:30]
	;; [unrolled: 1-line block ×10, first 2 shown]
	v_add_f64 v[33:34], v[33:34], v[37:38]
	v_add_f64 v[21:22], v[15:16], v[21:22]
	;; [unrolled: 1-line block ×3, first 2 shown]
	v_fma_f64 v[72:73], v[55:56], s[0:1], v[23:24]
	v_fma_f64 v[55:56], v[55:56], s[0:1], v[35:36]
	v_mul_f64 v[70:71], v[100:101], s[10:11]
	v_mul_f64 v[82:83], v[100:101], s[16:17]
	;; [unrolled: 1-line block ×8, first 2 shown]
	v_fma_f64 v[88:89], v[80:81], s[0:1], v[39:40]
	v_fma_f64 v[90:91], v[84:85], s[0:1], v[43:44]
	;; [unrolled: 1-line block ×6, first 2 shown]
	v_add_f64 v[15:16], v[10:11], v[21:22]
	v_add_f64 v[17:18], v[33:34], v[37:38]
	v_add_f64 v[19:20], v[10:11], -v[21:22]
	v_add_f64 v[21:22], v[33:34], -v[37:38]
	v_fma_f64 v[39:40], v[66:67], s[16:17], v[70:71]
	v_fma_f64 v[66:67], v[66:67], s[12:13], v[82:83]
	;; [unrolled: 1-line block ×8, first 2 shown]
	v_cmp_gt_u32_e64 s0, 52, v62
	v_add_f64 v[23:24], v[72:73], v[39:40]
	v_add_f64 v[25:26], v[90:91], v[66:67]
	;; [unrolled: 1-line block ×8, first 2 shown]
	v_add_f64 v[39:40], v[72:73], -v[39:40]
	v_add_f64 v[41:42], v[90:91], -v[66:67]
	;; [unrolled: 1-line block ×8, first 2 shown]
	ds_write_b128 v12, v[15:18]
	ds_write_b128 v12, v[19:22] offset:4160
	ds_write_b128 v12, v[23:26] offset:832
	;; [unrolled: 1-line block ×9, first 2 shown]
	s_waitcnt lgkmcnt(0)
	s_barrier
	buffer_gl0_inv
	ds_read_b128 v[12:15], v48
	ds_read_b128 v[16:19], v48 offset:2496
	ds_read_b128 v[24:27], v48 offset:16640
	;; [unrolled: 1-line block ×8, first 2 shown]
	s_and_saveexec_b32 s1, s0
	s_cbranch_execz .LBB0_15
; %bb.14:
	ds_read_b128 v[8:11], v48 offset:7488
	ds_read_b128 v[0:3], v48 offset:15808
	ds_read_b128 v[4:7], v48 offset:24128
.LBB0_15:
	s_or_b32 exec_lo, exec_lo, s1
	s_and_saveexec_b32 s1, vcc_lo
	s_cbranch_execz .LBB0_18
; %bb.16:
	v_lshlrev_b32_e32 v48, 1, v51
	v_mov_b32_e32 v49, 0
	v_mul_lo_u32 v94, s2, v65
	v_mul_hi_u32 v95, 0xfc0fc0fd, v51
	v_lshlrev_b64 v[60:61], 4, v[60:61]
	s_mov_b32 s5, 0x3febb67a
	v_lshlrev_b64 v[53:54], 4, v[48:49]
	v_lshlrev_b32_e32 v48, 1, v52
	v_lshlrev_b64 v[66:67], 4, v[48:49]
	v_add_co_u32 v55, vcc_lo, s8, v53
	v_add_co_ci_u32_e32 v54, vcc_lo, s9, v54, vcc_lo
	v_lshlrev_b32_e32 v48, 1, v62
	v_add_co_u32 v52, vcc_lo, 0x1800, v55
	v_add_co_ci_u32_e32 v53, vcc_lo, 0, v54, vcc_lo
	v_add_co_u32 v56, vcc_lo, 0x1fb0, v55
	v_add_co_ci_u32_e32 v57, vcc_lo, 0, v54, vcc_lo
	;; [unrolled: 2-line block ×3, first 2 shown]
	v_lshlrev_b64 v[66:67], 4, v[48:49]
	v_add_co_u32 v70, vcc_lo, 0x1fb0, v63
	v_add_co_ci_u32_e32 v71, vcc_lo, 0, v68, vcc_lo
	s_clause 0x1
	global_load_dwordx4 v[52:55], v[52:53], off offset:1968
	global_load_dwordx4 v[56:59], v[56:57], off offset:16
	v_add_co_u32 v48, vcc_lo, s8, v66
	v_add_co_ci_u32_e32 v69, vcc_lo, s9, v67, vcc_lo
	v_add_co_u32 v66, vcc_lo, 0x1800, v63
	v_add_co_ci_u32_e32 v67, vcc_lo, 0, v68, vcc_lo
	;; [unrolled: 2-line block ×4, first 2 shown]
	s_clause 0x3
	global_load_dwordx4 v[66:69], v[66:67], off offset:1968
	global_load_dwordx4 v[70:73], v[70:71], off offset:16
	;; [unrolled: 1-line block ×4, first 2 shown]
	v_mul_lo_u32 v48, s3, v64
	v_mad_u64_u32 v[64:65], null, s2, v64, 0
	v_mov_b32_e32 v63, v49
	s_mov_b32 s2, 0xe8584caa
	s_mov_b32 s3, 0xbfebb67a
	;; [unrolled: 1-line block ×3, first 2 shown]
	v_add3_u32 v65, v65, v94, v48
	v_lshrrev_b32_e32 v48, 9, v95
	v_lshlrev_b64 v[94:95], 4, v[62:63]
	v_lshlrev_b64 v[63:64], 4, v[64:65]
	v_mad_u32_u24 v48, 0x410, v48, v51
	s_waitcnt vmcnt(5) lgkmcnt(1)
	v_mul_f64 v[82:83], v[40:41], v[54:55]
	v_mul_f64 v[54:55], v[42:43], v[54:55]
	s_waitcnt vmcnt(4) lgkmcnt(0)
	v_mul_f64 v[84:85], v[44:45], v[58:59]
	v_mul_f64 v[58:59], v[46:47], v[58:59]
	s_waitcnt vmcnt(3)
	v_mul_f64 v[86:87], v[36:37], v[68:69]
	s_waitcnt vmcnt(2)
	v_mul_f64 v[88:89], v[32:33], v[72:73]
	v_mul_f64 v[68:69], v[38:39], v[68:69]
	;; [unrolled: 1-line block ×3, first 2 shown]
	s_waitcnt vmcnt(1)
	v_mul_f64 v[90:91], v[28:29], v[76:77]
	s_waitcnt vmcnt(0)
	v_mul_f64 v[92:93], v[24:25], v[80:81]
	v_mul_f64 v[76:77], v[30:31], v[76:77]
	;; [unrolled: 1-line block ×3, first 2 shown]
	v_fma_f64 v[42:43], v[42:43], v[52:53], -v[82:83]
	v_fma_f64 v[40:41], v[40:41], v[52:53], v[54:55]
	v_fma_f64 v[44:45], v[44:45], v[56:57], v[58:59]
	v_fma_f64 v[46:47], v[46:47], v[56:57], -v[84:85]
	v_lshlrev_b64 v[54:55], 4, v[48:49]
	v_fma_f64 v[38:39], v[38:39], v[66:67], -v[86:87]
	v_fma_f64 v[34:35], v[34:35], v[70:71], -v[88:89]
	v_fma_f64 v[36:37], v[36:37], v[66:67], v[68:69]
	v_fma_f64 v[32:33], v[32:33], v[70:71], v[72:73]
	v_fma_f64 v[30:31], v[30:31], v[74:75], -v[90:91]
	v_fma_f64 v[26:27], v[26:27], v[78:79], -v[92:93]
	v_fma_f64 v[28:29], v[28:29], v[74:75], v[76:77]
	v_fma_f64 v[52:53], v[24:25], v[78:79], v[80:81]
	v_add_co_u32 v24, vcc_lo, s14, v63
	v_add_co_ci_u32_e32 v25, vcc_lo, s15, v64, vcc_lo
	v_add_f64 v[58:59], v[40:41], v[44:45]
	v_add_co_u32 v51, vcc_lo, v24, v60
	v_add_co_ci_u32_e32 v61, vcc_lo, v25, v61, vcc_lo
	v_add_f64 v[56:57], v[42:43], v[46:47]
	v_add_co_u32 v24, vcc_lo, v51, v94
	v_add_co_ci_u32_e32 v25, vcc_lo, v61, v95, vcc_lo
	v_add_co_u32 v60, vcc_lo, v51, v54
	v_add_co_ci_u32_e32 v61, vcc_lo, v61, v55, vcc_lo
	v_add_f64 v[54:55], v[38:39], v[34:35]
	v_add_f64 v[63:64], v[36:37], v[32:33]
	v_add_f64 v[65:66], v[30:31], v[26:27]
	v_add_f64 v[67:68], v[28:29], v[52:53]
	v_add_f64 v[75:76], v[36:37], -v[32:33]
	v_add_f64 v[77:78], v[18:19], v[38:39]
	v_add_f64 v[36:37], v[16:17], v[36:37]
	;; [unrolled: 1-line block ×4, first 2 shown]
	v_add_f64 v[71:72], v[40:41], -v[44:45]
	v_add_f64 v[40:41], v[20:21], v[40:41]
	v_add_f64 v[38:39], v[38:39], -v[34:35]
	v_add_f64 v[83:84], v[28:29], -v[52:53]
	;; [unrolled: 1-line block ×3, first 2 shown]
	v_add_f64 v[73:74], v[22:23], v[42:43]
	v_add_f64 v[42:43], v[42:43], -v[46:47]
	v_fma_f64 v[58:59], v[58:59], -0.5, v[20:21]
	v_fma_f64 v[56:57], v[56:57], -0.5, v[22:23]
	v_add_co_u32 v69, vcc_lo, 0x2000, v24
	v_add_co_ci_u32_e32 v70, vcc_lo, 0, v25, vcc_lo
	v_fma_f64 v[54:55], v[54:55], -0.5, v[18:19]
	v_fma_f64 v[63:64], v[63:64], -0.5, v[16:17]
	v_fma_f64 v[65:66], v[65:66], -0.5, v[14:15]
	v_fma_f64 v[67:68], v[67:68], -0.5, v[12:13]
	v_add_co_u32 v87, vcc_lo, 0x4000, v24
	v_add_f64 v[18:19], v[77:78], v[34:35]
	v_add_f64 v[16:17], v[36:37], v[32:33]
	;; [unrolled: 1-line block ×5, first 2 shown]
	v_add_co_ci_u32_e32 v88, vcc_lo, 0, v25, vcc_lo
	v_add_co_u32 v89, vcc_lo, 0x800, v24
	v_add_f64 v[14:15], v[73:74], v[46:47]
	v_fma_f64 v[26:27], v[42:43], s[4:5], v[58:59]
	v_fma_f64 v[30:31], v[42:43], s[2:3], v[58:59]
	v_fma_f64 v[32:33], v[71:72], s[4:5], v[56:57]
	v_fma_f64 v[28:29], v[71:72], s[2:3], v[56:57]
	v_add_co_ci_u32_e32 v90, vcc_lo, 0, v25, vcc_lo
	v_fma_f64 v[40:41], v[75:76], s[4:5], v[54:55]
	v_fma_f64 v[34:35], v[38:39], s[4:5], v[63:64]
	;; [unrolled: 1-line block ×8, first 2 shown]
	v_add_co_u32 v46, vcc_lo, 0x2800, v24
	v_add_co_ci_u32_e32 v47, vcc_lo, 0, v25, vcc_lo
	v_add_co_u32 v55, vcc_lo, 0x4800, v24
	v_add_co_ci_u32_e32 v56, vcc_lo, 0, v25, vcc_lo
	;; [unrolled: 2-line block ×4, first 2 shown]
	global_store_dwordx4 v[89:90], v[16:19], off offset:448
	global_store_dwordx4 v[24:25], v[20:23], off
	global_store_dwordx4 v[46:47], v[38:41], off offset:576
	global_store_dwordx4 v[55:56], v[34:37], off offset:704
	;; [unrolled: 1-line block ×4, first 2 shown]
	global_store_dwordx4 v[60:61], v[12:15], off
	global_store_dwordx4 v[57:58], v[30:33], off offset:128
	global_store_dwordx4 v[63:64], v[26:29], off offset:256
	s_and_b32 exec_lo, exec_lo, s0
	s_cbranch_execz .LBB0_18
; %bb.17:
	v_subrev_nc_u32_e32 v12, 52, v62
	v_cndmask_b32_e64 v12, v12, v50, s0
	v_lshlrev_b32_e32 v48, 1, v12
	v_lshlrev_b64 v[12:13], 4, v[48:49]
	v_add_co_u32 v14, vcc_lo, s8, v12
	v_add_co_ci_u32_e32 v15, vcc_lo, s9, v13, vcc_lo
	v_add_co_u32 v12, vcc_lo, 0x1800, v14
	v_add_co_ci_u32_e32 v13, vcc_lo, 0, v15, vcc_lo
	;; [unrolled: 2-line block ×3, first 2 shown]
	s_clause 0x1
	global_load_dwordx4 v[12:15], v[12:13], off offset:1968
	global_load_dwordx4 v[16:19], v[16:17], off offset:16
	s_waitcnt vmcnt(1)
	v_mul_f64 v[20:21], v[2:3], v[14:15]
	s_waitcnt vmcnt(0)
	v_mul_f64 v[22:23], v[6:7], v[18:19]
	v_mul_f64 v[14:15], v[0:1], v[14:15]
	;; [unrolled: 1-line block ×3, first 2 shown]
	v_fma_f64 v[0:1], v[0:1], v[12:13], v[20:21]
	v_fma_f64 v[4:5], v[4:5], v[16:17], v[22:23]
	v_fma_f64 v[2:3], v[2:3], v[12:13], -v[14:15]
	v_fma_f64 v[6:7], v[6:7], v[16:17], -v[18:19]
	v_add_f64 v[16:17], v[8:9], v[0:1]
	v_add_f64 v[12:13], v[0:1], v[4:5]
	v_add_f64 v[14:15], v[2:3], v[6:7]
	v_add_f64 v[18:19], v[2:3], -v[6:7]
	v_add_f64 v[2:3], v[10:11], v[2:3]
	v_fma_f64 v[8:9], v[12:13], -0.5, v[8:9]
	v_add_f64 v[12:13], v[0:1], -v[4:5]
	v_fma_f64 v[10:11], v[14:15], -0.5, v[10:11]
	v_add_f64 v[0:1], v[16:17], v[4:5]
	v_add_f64 v[2:3], v[2:3], v[6:7]
	v_fma_f64 v[4:5], v[18:19], s[2:3], v[8:9]
	v_fma_f64 v[8:9], v[18:19], s[4:5], v[8:9]
	;; [unrolled: 1-line block ×4, first 2 shown]
	v_add_co_u32 v12, vcc_lo, 0x1800, v24
	v_add_co_ci_u32_e32 v13, vcc_lo, 0, v25, vcc_lo
	v_add_co_u32 v14, vcc_lo, 0x3800, v24
	v_add_co_ci_u32_e32 v15, vcc_lo, 0, v25, vcc_lo
	;; [unrolled: 2-line block ×3, first 2 shown]
	global_store_dwordx4 v[12:13], v[0:3], off offset:1344
	global_store_dwordx4 v[14:15], v[4:7], off offset:1472
	;; [unrolled: 1-line block ×3, first 2 shown]
.LBB0_18:
	s_endpgm
	.section	.rodata,"a",@progbits
	.p2align	6, 0x0
	.amdhsa_kernel fft_rtc_back_len1560_factors_13_2_2_10_3_wgs_156_tpt_156_dp_op_CI_CI_unitstride_sbrr_dirReg
		.amdhsa_group_segment_fixed_size 0
		.amdhsa_private_segment_fixed_size 0
		.amdhsa_kernarg_size 104
		.amdhsa_user_sgpr_count 6
		.amdhsa_user_sgpr_private_segment_buffer 1
		.amdhsa_user_sgpr_dispatch_ptr 0
		.amdhsa_user_sgpr_queue_ptr 0
		.amdhsa_user_sgpr_kernarg_segment_ptr 1
		.amdhsa_user_sgpr_dispatch_id 0
		.amdhsa_user_sgpr_flat_scratch_init 0
		.amdhsa_user_sgpr_private_segment_size 0
		.amdhsa_wavefront_size32 1
		.amdhsa_uses_dynamic_stack 0
		.amdhsa_system_sgpr_private_segment_wavefront_offset 0
		.amdhsa_system_sgpr_workgroup_id_x 1
		.amdhsa_system_sgpr_workgroup_id_y 0
		.amdhsa_system_sgpr_workgroup_id_z 0
		.amdhsa_system_sgpr_workgroup_info 0
		.amdhsa_system_vgpr_workitem_id 0
		.amdhsa_next_free_vgpr 192
		.amdhsa_next_free_sgpr 44
		.amdhsa_reserve_vcc 1
		.amdhsa_reserve_flat_scratch 0
		.amdhsa_float_round_mode_32 0
		.amdhsa_float_round_mode_16_64 0
		.amdhsa_float_denorm_mode_32 3
		.amdhsa_float_denorm_mode_16_64 3
		.amdhsa_dx10_clamp 1
		.amdhsa_ieee_mode 1
		.amdhsa_fp16_overflow 0
		.amdhsa_workgroup_processor_mode 1
		.amdhsa_memory_ordered 1
		.amdhsa_forward_progress 0
		.amdhsa_shared_vgpr_count 0
		.amdhsa_exception_fp_ieee_invalid_op 0
		.amdhsa_exception_fp_denorm_src 0
		.amdhsa_exception_fp_ieee_div_zero 0
		.amdhsa_exception_fp_ieee_overflow 0
		.amdhsa_exception_fp_ieee_underflow 0
		.amdhsa_exception_fp_ieee_inexact 0
		.amdhsa_exception_int_div_zero 0
	.end_amdhsa_kernel
	.text
.Lfunc_end0:
	.size	fft_rtc_back_len1560_factors_13_2_2_10_3_wgs_156_tpt_156_dp_op_CI_CI_unitstride_sbrr_dirReg, .Lfunc_end0-fft_rtc_back_len1560_factors_13_2_2_10_3_wgs_156_tpt_156_dp_op_CI_CI_unitstride_sbrr_dirReg
                                        ; -- End function
	.section	.AMDGPU.csdata,"",@progbits
; Kernel info:
; codeLenInByte = 10752
; NumSgprs: 46
; NumVgprs: 192
; ScratchSize: 0
; MemoryBound: 1
; FloatMode: 240
; IeeeMode: 1
; LDSByteSize: 0 bytes/workgroup (compile time only)
; SGPRBlocks: 5
; VGPRBlocks: 23
; NumSGPRsForWavesPerEU: 46
; NumVGPRsForWavesPerEU: 192
; Occupancy: 5
; WaveLimiterHint : 1
; COMPUTE_PGM_RSRC2:SCRATCH_EN: 0
; COMPUTE_PGM_RSRC2:USER_SGPR: 6
; COMPUTE_PGM_RSRC2:TRAP_HANDLER: 0
; COMPUTE_PGM_RSRC2:TGID_X_EN: 1
; COMPUTE_PGM_RSRC2:TGID_Y_EN: 0
; COMPUTE_PGM_RSRC2:TGID_Z_EN: 0
; COMPUTE_PGM_RSRC2:TIDIG_COMP_CNT: 0
	.text
	.p2alignl 6, 3214868480
	.fill 48, 4, 3214868480
	.type	__hip_cuid_4c940be695b110d3,@object ; @__hip_cuid_4c940be695b110d3
	.section	.bss,"aw",@nobits
	.globl	__hip_cuid_4c940be695b110d3
__hip_cuid_4c940be695b110d3:
	.byte	0                               ; 0x0
	.size	__hip_cuid_4c940be695b110d3, 1

	.ident	"AMD clang version 19.0.0git (https://github.com/RadeonOpenCompute/llvm-project roc-6.4.0 25133 c7fe45cf4b819c5991fe208aaa96edf142730f1d)"
	.section	".note.GNU-stack","",@progbits
	.addrsig
	.addrsig_sym __hip_cuid_4c940be695b110d3
	.amdgpu_metadata
---
amdhsa.kernels:
  - .args:
      - .actual_access:  read_only
        .address_space:  global
        .offset:         0
        .size:           8
        .value_kind:     global_buffer
      - .offset:         8
        .size:           8
        .value_kind:     by_value
      - .actual_access:  read_only
        .address_space:  global
        .offset:         16
        .size:           8
        .value_kind:     global_buffer
      - .actual_access:  read_only
        .address_space:  global
        .offset:         24
        .size:           8
        .value_kind:     global_buffer
      - .actual_access:  read_only
        .address_space:  global
        .offset:         32
        .size:           8
        .value_kind:     global_buffer
      - .offset:         40
        .size:           8
        .value_kind:     by_value
      - .actual_access:  read_only
        .address_space:  global
        .offset:         48
        .size:           8
        .value_kind:     global_buffer
      - .actual_access:  read_only
        .address_space:  global
        .offset:         56
        .size:           8
        .value_kind:     global_buffer
      - .offset:         64
        .size:           4
        .value_kind:     by_value
      - .actual_access:  read_only
        .address_space:  global
        .offset:         72
        .size:           8
        .value_kind:     global_buffer
      - .actual_access:  read_only
        .address_space:  global
        .offset:         80
        .size:           8
        .value_kind:     global_buffer
      - .actual_access:  read_only
        .address_space:  global
        .offset:         88
        .size:           8
        .value_kind:     global_buffer
      - .actual_access:  write_only
        .address_space:  global
        .offset:         96
        .size:           8
        .value_kind:     global_buffer
    .group_segment_fixed_size: 0
    .kernarg_segment_align: 8
    .kernarg_segment_size: 104
    .language:       OpenCL C
    .language_version:
      - 2
      - 0
    .max_flat_workgroup_size: 156
    .name:           fft_rtc_back_len1560_factors_13_2_2_10_3_wgs_156_tpt_156_dp_op_CI_CI_unitstride_sbrr_dirReg
    .private_segment_fixed_size: 0
    .sgpr_count:     46
    .sgpr_spill_count: 0
    .symbol:         fft_rtc_back_len1560_factors_13_2_2_10_3_wgs_156_tpt_156_dp_op_CI_CI_unitstride_sbrr_dirReg.kd
    .uniform_work_group_size: 1
    .uses_dynamic_stack: false
    .vgpr_count:     192
    .vgpr_spill_count: 0
    .wavefront_size: 32
    .workgroup_processor_mode: 1
amdhsa.target:   amdgcn-amd-amdhsa--gfx1030
amdhsa.version:
  - 1
  - 2
...

	.end_amdgpu_metadata
